;; amdgpu-corpus repo=ROCm/rocFFT kind=compiled arch=gfx1201 opt=O3
	.text
	.amdgcn_target "amdgcn-amd-amdhsa--gfx1201"
	.amdhsa_code_object_version 6
	.protected	bluestein_single_back_len400_dim1_sp_op_CI_CI ; -- Begin function bluestein_single_back_len400_dim1_sp_op_CI_CI
	.globl	bluestein_single_back_len400_dim1_sp_op_CI_CI
	.p2align	8
	.type	bluestein_single_back_len400_dim1_sp_op_CI_CI,@function
bluestein_single_back_len400_dim1_sp_op_CI_CI: ; @bluestein_single_back_len400_dim1_sp_op_CI_CI
; %bb.0:
	s_load_b128 s[8:11], s[0:1], 0x28
	v_mul_u32_u24_e32 v1, 0x667, v0
	s_mov_b32 s2, exec_lo
	s_delay_alu instid0(VALU_DEP_1) | instskip(NEXT) | instid1(VALU_DEP_1)
	v_lshrrev_b32_e32 v1, 16, v1
	v_mad_co_u64_u32 v[60:61], null, ttmp9, 3, v[1:2]
	v_mov_b32_e32 v61, 0
	s_wait_kmcnt 0x0
	s_delay_alu instid0(VALU_DEP_1)
	v_cmpx_gt_u64_e64 s[8:9], v[60:61]
	s_cbranch_execz .LBB0_15
; %bb.1:
	s_clause 0x1
	s_load_b128 s[4:7], s[0:1], 0x18
	s_load_b64 s[16:17], s[0:1], 0x0
	v_mul_lo_u16 v1, v1, 40
	v_mul_hi_u32 v18, 0xaaaaaaab, v60
	s_movk_i32 s2, 0xfefc
	s_mov_b32 s3, -1
	s_delay_alu instid0(VALU_DEP_2) | instskip(NEXT) | instid1(VALU_DEP_2)
	v_sub_nc_u16 v22, v0, v1
	v_lshrrev_b32_e32 v18, 1, v18
	s_delay_alu instid0(VALU_DEP_2) | instskip(NEXT) | instid1(VALU_DEP_2)
	v_and_b32_e32 v83, 0xffff, v22
	v_lshl_add_u32 v18, v18, 1, v18
	s_wait_kmcnt 0x0
	s_load_b128 s[12:15], s[4:5], 0x0
	s_delay_alu instid0(VALU_DEP_1) | instskip(NEXT) | instid1(VALU_DEP_1)
	v_sub_nc_u32_e32 v18, v60, v18
	v_mul_u32_u24_e32 v18, 0x190, v18
	s_wait_kmcnt 0x0
	v_mad_co_u64_u32 v[0:1], null, s14, v60, 0
	v_mad_co_u64_u32 v[2:3], null, s12, v83, 0
	s_mul_u64 s[4:5], s[12:13], 0x64
	s_mul_u64 s[2:3], s[12:13], s[2:3]
	s_delay_alu instid0(SALU_CYCLE_1) | instskip(NEXT) | instid1(VALU_DEP_1)
	s_lshl_b64 s[2:3], s[2:3], 3
	v_mad_co_u64_u32 v[4:5], null, s15, v60, v[1:2]
	s_delay_alu instid0(VALU_DEP_1) | instskip(NEXT) | instid1(VALU_DEP_3)
	v_dual_mov_b32 v1, v4 :: v_dual_lshlrev_b32 v38, 3, v83
	v_mad_co_u64_u32 v[5:6], null, s13, v83, v[3:4]
	s_clause 0x1
	global_load_b64 v[75:76], v38, s[16:17]
	global_load_b64 v[73:74], v38, s[16:17] offset:800
	v_lshlrev_b32_e32 v39, 3, v18
	v_lshlrev_b64_e32 v[0:1], 3, v[0:1]
	s_clause 0x1
	global_load_b64 v[77:78], v38, s[16:17] offset:1600
	global_load_b64 v[65:66], v38, s[16:17] offset:2400
	v_add_co_u32 v61, s12, s16, v38
	v_dual_mov_b32 v3, v5 :: v_dual_add_nc_u32 v84, v38, v39
	v_add_co_u32 v0, vcc_lo, s10, v0
	v_add_co_ci_u32_e32 v1, vcc_lo, s11, v1, vcc_lo
	s_delay_alu instid0(VALU_DEP_3) | instskip(SKIP_3) | instid1(VALU_DEP_2)
	v_lshlrev_b64_e32 v[2:3], 3, v[2:3]
	s_lshl_b64 s[10:11], s[4:5], 3
	s_wait_alu 0xf1ff
	v_add_co_ci_u32_e64 v62, null, s17, 0, s12
	v_add_co_u32 v0, vcc_lo, v0, v2
	s_wait_alu 0xfffd
	v_add_co_ci_u32_e32 v1, vcc_lo, v1, v3, vcc_lo
	s_wait_alu 0xfffe
	s_delay_alu instid0(VALU_DEP_2) | instskip(SKIP_1) | instid1(VALU_DEP_2)
	v_add_co_u32 v2, vcc_lo, v0, s10
	s_wait_alu 0xfffd
	v_add_co_ci_u32_e32 v3, vcc_lo, s11, v1, vcc_lo
	global_load_b64 v[6:7], v[0:1], off
	v_add_co_u32 v4, vcc_lo, v2, s10
	s_wait_alu 0xfffd
	v_add_co_ci_u32_e32 v5, vcc_lo, s11, v3, vcc_lo
	global_load_b64 v[2:3], v[2:3], off
	v_add_co_u32 v0, vcc_lo, v4, s10
	s_wait_alu 0xfffd
	v_add_co_ci_u32_e32 v1, vcc_lo, s11, v5, vcc_lo
	s_clause 0x1
	global_load_b64 v[4:5], v[4:5], off
	global_load_b64 v[10:11], v[0:1], off
	v_add_co_u32 v8, vcc_lo, v0, s2
	s_wait_alu 0xfffd
	v_add_co_ci_u32_e32 v9, vcc_lo, s3, v1, vcc_lo
	s_delay_alu instid0(VALU_DEP_2) | instskip(SKIP_1) | instid1(VALU_DEP_2)
	v_add_co_u32 v0, vcc_lo, v8, s10
	s_wait_alu 0xfffd
	v_add_co_ci_u32_e32 v1, vcc_lo, s11, v9, vcc_lo
	s_clause 0x1
	global_load_b64 v[63:64], v38, s[16:17] offset:1120
	global_load_b64 v[71:72], v38, s[16:17] offset:320
	global_load_b64 v[8:9], v[8:9], off
	global_load_b64 v[12:13], v[0:1], off
	v_add_co_u32 v14, vcc_lo, v0, s10
	s_wait_alu 0xfffd
	v_add_co_ci_u32_e32 v15, vcc_lo, s11, v1, vcc_lo
	s_delay_alu instid0(VALU_DEP_2) | instskip(SKIP_1) | instid1(VALU_DEP_2)
	v_add_co_u32 v0, vcc_lo, v14, s10
	s_wait_alu 0xfffd
	v_add_co_ci_u32_e32 v1, vcc_lo, s11, v15, vcc_lo
	s_clause 0x1
	global_load_b64 v[67:68], v38, s[16:17] offset:2720
	global_load_b64 v[69:70], v38, s[16:17] offset:1920
	global_load_b64 v[14:15], v[14:15], off
	global_load_b64 v[16:17], v[0:1], off
	s_load_b64 s[8:9], s[0:1], 0x38
	s_load_b128 s[4:7], s[6:7], 0x0
	v_cmp_gt_u16_e32 vcc_lo, 20, v22
	s_wait_loadcnt 0xb
	v_mul_f32_e32 v19, v6, v76
	v_mul_f32_e32 v18, v7, v76
	s_wait_loadcnt 0xa
	v_mul_f32_e32 v20, v3, v74
	s_delay_alu instid0(VALU_DEP_3)
	v_fma_f32 v19, v7, v75, -v19
	v_mul_f32_e32 v7, v2, v74
	v_fmac_f32_e32 v18, v6, v75
	s_wait_loadcnt 0x9
	v_dual_fmac_f32 v20, v2, v73 :: v_dual_mul_f32 v23, v4, v78
	v_mul_f32_e32 v2, v5, v78
	s_wait_loadcnt 0x8
	v_mul_f32_e32 v6, v11, v66
	v_mul_f32_e32 v24, v10, v66
	s_delay_alu instid0(VALU_DEP_3)
	v_fmac_f32_e32 v2, v4, v77
	v_fma_f32 v21, v3, v73, -v7
	v_fma_f32 v3, v5, v77, -v23
	v_fmac_f32_e32 v6, v10, v65
	v_fma_f32 v7, v11, v65, -v24
	s_wait_loadcnt 0x5
	v_mul_f32_e32 v4, v9, v72
	v_mul_f32_e32 v5, v8, v72
	s_wait_loadcnt 0x4
	v_mul_f32_e32 v10, v13, v64
	ds_store_b64 v84, v[20:21] offset:800
	ds_store_b64 v84, v[2:3] offset:1600
	;; [unrolled: 1-line block ×3, first 2 shown]
	v_mul_f32_e32 v3, v12, v64
	v_fma_f32 v5, v9, v71, -v5
	s_wait_loadcnt 0x1
	v_dual_fmac_f32 v10, v12, v63 :: v_dual_mul_f32 v7, v14, v70
	v_mul_f32_e32 v2, v15, v70
	v_fmac_f32_e32 v4, v8, v71
	s_wait_loadcnt 0x0
	v_mul_f32_e32 v6, v17, v68
	v_mul_f32_e32 v8, v16, v68
	v_fma_f32 v11, v13, v63, -v3
	v_fmac_f32_e32 v2, v14, v69
	v_fma_f32 v3, v15, v69, -v7
	v_fmac_f32_e32 v6, v16, v67
	v_fma_f32 v7, v17, v67, -v8
	ds_store_2addr_b64 v84, v[18:19], v[4:5] offset1:40
	ds_store_b64 v84, v[10:11] offset:1120
	ds_store_b64 v84, v[2:3] offset:1920
	;; [unrolled: 1-line block ×3, first 2 shown]
	s_and_saveexec_b32 s12, vcc_lo
	s_cbranch_execz .LBB0_3
; %bb.2:
	v_add_co_u32 v0, s2, v0, s2
	s_wait_alu 0xf1ff
	v_add_co_ci_u32_e64 v1, s2, s3, v1, s2
	s_delay_alu instid0(VALU_DEP_2) | instskip(SKIP_1) | instid1(VALU_DEP_2)
	v_add_co_u32 v2, s2, v0, s10
	s_wait_alu 0xf1ff
	v_add_co_ci_u32_e64 v3, s2, s11, v1, s2
	global_load_b64 v[4:5], v[61:62], off offset:640
	global_load_b64 v[0:1], v[0:1], off
	global_load_b64 v[6:7], v[2:3], off
	v_add_co_u32 v2, s2, v2, s10
	s_wait_alu 0xf1ff
	v_add_co_ci_u32_e64 v3, s2, s11, v3, s2
	global_load_b64 v[8:9], v[61:62], off offset:1440
	v_add_co_u32 v10, s2, v2, s10
	s_wait_alu 0xf1ff
	v_add_co_ci_u32_e64 v11, s2, s11, v3, s2
	global_load_b64 v[2:3], v[2:3], off
	s_clause 0x1
	global_load_b64 v[12:13], v[61:62], off offset:2240
	global_load_b64 v[14:15], v[61:62], off offset:3040
	global_load_b64 v[10:11], v[10:11], off
	s_wait_loadcnt 0x6
	v_mul_f32_e32 v16, v1, v5
	v_mul_f32_e32 v17, v0, v5
	s_wait_loadcnt 0x4
	v_mul_f32_e32 v5, v7, v9
	s_delay_alu instid0(VALU_DEP_1) | instskip(SKIP_3) | instid1(VALU_DEP_1)
	v_fmac_f32_e32 v5, v6, v8
	v_fmac_f32_e32 v16, v0, v4
	s_wait_loadcnt 0x2
	v_mul_f32_e32 v0, v3, v13
	v_fmac_f32_e32 v0, v2, v12
	v_fma_f32 v17, v1, v4, -v17
	v_mul_f32_e32 v1, v6, v9
	s_wait_loadcnt 0x0
	v_dual_mul_f32 v4, v2, v13 :: v_dual_mul_f32 v9, v11, v15
	v_dual_mul_f32 v13, v10, v15 :: v_dual_add_nc_u32 v2, 0x800, v84
	s_delay_alu instid0(VALU_DEP_3) | instskip(NEXT) | instid1(VALU_DEP_3)
	v_fma_f32 v6, v7, v8, -v1
	v_fma_f32 v1, v3, v12, -v4
	s_delay_alu instid0(VALU_DEP_4) | instskip(NEXT) | instid1(VALU_DEP_4)
	v_fmac_f32_e32 v9, v10, v14
	v_fma_f32 v10, v11, v14, -v13
	ds_store_2addr_b64 v84, v[16:17], v[5:6] offset0:80 offset1:180
	ds_store_2addr_b64 v2, v[0:1], v[9:10] offset0:24 offset1:124
.LBB0_3:
	s_wait_alu 0xfffe
	s_or_b32 exec_lo, exec_lo, s12
	v_add_nc_u32_e32 v4, 0x800, v84
	global_wb scope:SCOPE_SE
	s_wait_dscnt 0x0
	s_wait_kmcnt 0x0
	s_barrier_signal -1
	s_barrier_wait -1
	global_inv scope:SCOPE_SE
	ds_load_2addr_b64 v[12:15], v84 offset1:40
	ds_load_2addr_b64 v[8:11], v84 offset0:100 offset1:140
	ds_load_2addr_b64 v[20:23], v84 offset0:200 offset1:240
	;; [unrolled: 1-line block ×3, first 2 shown]
                                        ; implicit-def: $vgpr6
                                        ; implicit-def: $vgpr2
	s_and_saveexec_b32 s2, vcc_lo
	s_cbranch_execz .LBB0_5
; %bb.4:
	ds_load_2addr_b64 v[0:3], v84 offset0:80 offset1:180
	ds_load_2addr_b64 v[4:7], v4 offset0:24 offset1:124
.LBB0_5:
	s_wait_alu 0xfffe
	s_or_b32 exec_lo, exec_lo, s2
	s_wait_dscnt 0x1
	v_dual_sub_f32 v24, v12, v20 :: v_dual_sub_f32 v25, v13, v21
	s_wait_dscnt 0x0
	v_dual_sub_f32 v16, v8, v16 :: v_dual_sub_f32 v17, v9, v17
	v_dual_sub_f32 v26, v14, v22 :: v_dual_sub_f32 v19, v11, v19
	s_delay_alu instid0(VALU_DEP_3) | instskip(NEXT) | instid1(VALU_DEP_3)
	v_fma_f32 v12, v12, 2.0, -v24
	v_fma_f32 v8, v8, 2.0, -v16
	;; [unrolled: 1-line block ×4, first 2 shown]
	v_dual_sub_f32 v18, v10, v18 :: v_dual_sub_f32 v27, v15, v23
	s_delay_alu instid0(VALU_DEP_4) | instskip(SKIP_1) | instid1(VALU_DEP_4)
	v_sub_f32_e32 v8, v12, v8
	v_fma_f32 v22, v14, 2.0, -v26
	v_sub_f32_e32 v9, v13, v9
	s_delay_alu instid0(VALU_DEP_4) | instskip(SKIP_3) | instid1(VALU_DEP_4)
	v_fma_f32 v14, v10, 2.0, -v18
	v_fma_f32 v23, v15, 2.0, -v27
	;; [unrolled: 1-line block ×3, first 2 shown]
	v_dual_sub_f32 v10, v24, v17 :: v_dual_add_f32 v11, v25, v16
	v_sub_f32_e32 v20, v22, v14
	v_dual_sub_f32 v4, v0, v4 :: v_dual_sub_f32 v7, v3, v7
	s_delay_alu instid0(VALU_DEP_4) | instskip(NEXT) | instid1(VALU_DEP_4)
	v_sub_f32_e32 v21, v23, v15
	v_fma_f32 v14, v24, 2.0, -v10
	s_delay_alu instid0(VALU_DEP_4)
	v_fma_f32 v24, v22, 2.0, -v20
	v_dual_sub_f32 v22, v26, v19 :: v_dual_sub_f32 v5, v1, v5
	s_load_b64 s[0:1], s[0:1], 0x8
	v_fma_f32 v3, v3, 2.0, -v7
	v_fma_f32 v15, v25, 2.0, -v11
	;; [unrolled: 1-line block ×4, first 2 shown]
	v_sub_f32_e32 v6, v2, v6
	v_add_f32_e32 v23, v27, v18
	v_fma_f32 v0, v0, 2.0, -v4
	v_lshlrev_b16 v18, 2, v83
	v_sub_f32_e32 v17, v1, v3
	v_fma_f32 v2, v2, 2.0, -v6
	v_add_co_u32 v28, null, 0x50, v83
	v_fma_f32 v12, v12, 2.0, -v8
	v_fma_f32 v13, v13, 2.0, -v9
	s_delay_alu instid0(VALU_DEP_4)
	v_dual_sub_f32 v16, v0, v2 :: v_dual_add_f32 v19, v6, v5
	v_and_b32_e32 v2, 0xffff, v18
	v_sub_f32_e32 v18, v4, v7
	v_lshl_add_u32 v42, v83, 5, v39
	v_lshl_add_u32 v86, v28, 5, v39
	v_fma_f32 v26, v26, 2.0, -v22
	v_lshl_add_u32 v87, v2, 3, v39
	v_fma_f32 v27, v27, 2.0, -v23
	global_wb scope:SCOPE_SE
	s_wait_kmcnt 0x0
	s_barrier_signal -1
	s_barrier_wait -1
	global_inv scope:SCOPE_SE
	ds_store_b128 v87, v[12:15]
	ds_store_b128 v87, v[8:11] offset:16
	ds_store_b128 v42, v[24:27] offset:1280
	;; [unrolled: 1-line block ×3, first 2 shown]
	s_and_saveexec_b32 s2, vcc_lo
	s_cbranch_execz .LBB0_7
; %bb.6:
	v_fma_f32 v3, v5, 2.0, -v19
	v_fma_f32 v2, v4, 2.0, -v18
	;; [unrolled: 1-line block ×4, first 2 shown]
	ds_store_b128 v86, v[0:3]
	ds_store_b128 v86, v[16:19] offset:16
.LBB0_7:
	s_wait_alu 0xfffe
	s_or_b32 exec_lo, exec_lo, s2
	v_and_b32_e32 v40, 3, v83
	global_wb scope:SCOPE_SE
	s_wait_dscnt 0x0
	s_barrier_signal -1
	s_barrier_wait -1
	global_inv scope:SCOPE_SE
	v_mad_co_u64_u32 v[20:21], null, 0x48, v40, s[0:1]
	v_lshrrev_b32_e32 v32, 2, v83
	v_mad_co_u64_u32 v[36:37], null, 0x48, v83, s[0:1]
	s_add_nc_u64 s[0:1], s[16:17], 0xc80
	s_clause 0x4
	global_load_b128 v[12:15], v[20:21], off
	global_load_b128 v[8:11], v[20:21], off offset:16
	global_load_b128 v[4:7], v[20:21], off offset:32
	global_load_b128 v[0:3], v[20:21], off offset:48
	global_load_b64 v[79:80], v[20:21], off offset:64
	ds_load_2addr_b64 v[20:23], v84 offset1:40
	ds_load_2addr_b64 v[24:27], v84 offset0:80 offset1:120
	v_mul_u32_u24_e32 v41, 40, v32
	v_add_nc_u32_e32 v43, 0x800, v84
	v_add_nc_u32_e32 v44, 0x400, v84
	ds_load_2addr_b64 v[28:31], v84 offset0:160 offset1:200
	v_or_b32_e32 v40, v41, v40
	s_delay_alu instid0(VALU_DEP_1)
	v_lshl_add_u32 v85, v40, 3, v39
	s_wait_loadcnt_dscnt 0x401
	v_dual_mul_f32 v49, v25, v15 :: v_dual_mul_f32 v40, v23, v13
	ds_load_2addr_b64 v[45:48], v43 offset0:64 offset1:104
	ds_load_2addr_b64 v[32:35], v44 offset0:112 offset1:152
	s_wait_loadcnt_dscnt 0x302
	v_dual_mul_f32 v52, v26, v9 :: v_dual_mul_f32 v53, v29, v11
	v_dual_mul_f32 v41, v22, v13 :: v_dual_mul_f32 v50, v24, v15
	;; [unrolled: 1-line block ×3, first 2 shown]
	s_wait_loadcnt 0x2
	v_mul_f32_e32 v55, v31, v5
	v_mul_f32_e32 v56, v30, v5
	v_fma_f32 v40, v22, v12, -v40
	v_fma_f32 v22, v24, v14, -v49
	;; [unrolled: 1-line block ×3, first 2 shown]
	v_dual_fmac_f32 v41, v23, v12 :: v_dual_fmac_f32 v50, v25, v14
	v_fma_f32 v23, v26, v8, -v51
	v_fma_f32 v25, v30, v4, -v55
	global_wb scope:SCOPE_SE
	s_wait_loadcnt_dscnt 0x0
	s_barrier_signal -1
	s_barrier_wait -1
	v_dual_mul_f32 v82, v46, v3 :: v_dual_mul_f32 v89, v48, v80
	v_mul_f32_e32 v57, v33, v7
	v_dual_mul_f32 v58, v32, v7 :: v_dual_mul_f32 v59, v35, v1
	v_dual_mul_f32 v81, v34, v1 :: v_dual_mul_f32 v88, v45, v3
	s_delay_alu instid0(VALU_DEP_4) | instskip(SKIP_2) | instid1(VALU_DEP_4)
	v_fma_f32 v28, v45, v2, -v82
	v_fmac_f32_e32 v54, v29, v10
	v_fma_f32 v26, v32, v6, -v57
	v_fmac_f32_e32 v81, v35, v0
	v_mul_f32_e32 v90, v47, v80
	v_dual_fmac_f32 v58, v33, v6 :: v_dual_add_f32 v45, v22, v28
	v_fmac_f32_e32 v52, v27, v8
	v_fma_f32 v27, v34, v0, -v59
	v_dual_fmac_f32 v56, v31, v4 :: v_dual_sub_f32 v35, v28, v26
	v_fmac_f32_e32 v88, v46, v2
	v_fma_f32 v29, v47, v79, -v89
	s_delay_alu instid0(VALU_DEP_4) | instskip(SKIP_1) | instid1(VALU_DEP_4)
	v_dual_add_f32 v89, v25, v27 :: v_dual_add_f32 v30, v20, v22
	v_add_f32_e32 v31, v24, v26
	v_dual_add_f32 v57, v50, v88 :: v_dual_fmac_f32 v90, v48, v79
	v_sub_f32_e32 v47, v26, v28
	v_dual_sub_f32 v34, v22, v24 :: v_dual_sub_f32 v55, v88, v58
	v_dual_sub_f32 v32, v50, v88 :: v_dual_sub_f32 v51, v24, v26
	v_sub_f32_e32 v33, v54, v58
	v_dual_sub_f32 v46, v24, v22 :: v_dual_sub_f32 v59, v58, v88
	v_dual_add_f32 v48, v21, v50 :: v_dual_sub_f32 v93, v23, v25
	v_dual_add_f32 v49, v54, v58 :: v_dual_add_f32 v82, v40, v23
	v_dual_sub_f32 v53, v50, v54 :: v_dual_sub_f32 v92, v56, v81
	v_dual_sub_f32 v50, v54, v50 :: v_dual_add_f32 v95, v23, v29
	v_dual_sub_f32 v94, v29, v27 :: v_dual_sub_f32 v97, v27, v29
	v_dual_sub_f32 v96, v25, v23 :: v_dual_add_f32 v99, v56, v81
	v_dual_add_f32 v98, v41, v52 :: v_dual_sub_f32 v23, v23, v29
	v_dual_sub_f32 v102, v90, v81 :: v_dual_add_f32 v103, v52, v90
	v_add_f32_e32 v24, v30, v24
	v_fma_f32 v105, -0.5, v31, v20
	v_dual_add_f32 v31, v48, v54 :: v_dual_add_f32 v30, v34, v35
	v_fma_f32 v35, -0.5, v45, v20
	v_dual_sub_f32 v22, v22, v28 :: v_dual_sub_f32 v91, v52, v90
	v_dual_sub_f32 v100, v25, v27 :: v_dual_sub_f32 v101, v52, v56
	v_sub_f32_e32 v52, v56, v52
	v_dual_sub_f32 v104, v81, v90 :: v_dual_add_f32 v25, v82, v25
	v_add_f32_e32 v20, v46, v47
	v_fma_f32 v46, -0.5, v49, v21
	v_add_f32_e32 v34, v53, v55
	v_fma_f32 v47, -0.5, v57, v21
	;; [unrolled: 2-line block ×3, first 2 shown]
	v_add_f32_e32 v48, v93, v94
	v_fmac_f32_e32 v40, -0.5, v95
	v_add_f32_e32 v50, v98, v56
	v_fma_f32 v53, -0.5, v99, v41
	v_dual_fmac_f32 v41, -0.5, v103 :: v_dual_add_f32 v24, v24, v26
	v_fmamk_f32 v55, v32, 0x3f737871, v105
	v_fmamk_f32 v56, v33, 0xbf737871, v35
	v_dual_add_f32 v54, v101, v102 :: v_dual_fmamk_f32 v57, v22, 0xbf737871, v46
	v_dual_add_f32 v52, v52, v104 :: v_dual_add_f32 v25, v25, v27
	v_dual_fmac_f32 v35, 0x3f737871, v33 :: v_dual_add_f32 v26, v31, v58
	v_fmac_f32_e32 v46, 0x3f737871, v22
	v_fmamk_f32 v58, v51, 0x3f737871, v47
	v_fmac_f32_e32 v47, 0xbf737871, v51
	v_fmamk_f32 v27, v91, 0x3f737871, v45
	v_fmamk_f32 v31, v92, 0xbf737871, v40
	v_fmac_f32_e32 v40, 0x3f737871, v92
	v_dual_add_f32 v50, v50, v81 :: v_dual_fmamk_f32 v59, v23, 0xbf737871, v53
	v_fmamk_f32 v81, v100, 0x3f737871, v41
	v_fmac_f32_e32 v41, 0xbf737871, v100
	v_dual_add_f32 v24, v24, v28 :: v_dual_fmac_f32 v55, 0x3f167918, v33
	v_dual_fmac_f32 v56, 0x3f167918, v32 :: v_dual_fmac_f32 v47, 0x3f167918, v22
	v_add_f32_e32 v49, v96, v97
	v_fmac_f32_e32 v45, 0xbf737871, v91
	v_fmac_f32_e32 v53, 0x3f737871, v23
	v_dual_fmac_f32 v35, 0xbf167918, v32 :: v_dual_fmac_f32 v58, 0xbf167918, v22
	v_dual_fmac_f32 v46, 0x3f167918, v51 :: v_dual_fmac_f32 v27, 0x3f167918, v92
	v_dual_add_f32 v22, v25, v29 :: v_dual_fmac_f32 v55, 0x3e9e377a, v30
	v_fmac_f32_e32 v56, 0x3e9e377a, v20
	v_fmac_f32_e32 v41, 0x3f167918, v23
	v_dual_fmac_f32 v45, 0xbf167918, v92 :: v_dual_fmac_f32 v40, 0xbf167918, v91
	v_fmac_f32_e32 v105, 0xbf737871, v32
	v_fmac_f32_e32 v57, 0xbf167918, v51
	s_delay_alu instid0(VALU_DEP_4) | instskip(SKIP_4) | instid1(VALU_DEP_4)
	v_fmac_f32_e32 v41, 0x3e9e377a, v52
	v_fmac_f32_e32 v27, 0x3e9e377a, v48
	;; [unrolled: 1-line block ×3, first 2 shown]
	v_dual_fmac_f32 v35, 0x3e9e377a, v20 :: v_dual_fmac_f32 v46, 0x3e9e377a, v34
	v_fmac_f32_e32 v45, 0x3e9e377a, v48
	v_mul_f32_e32 v48, 0xbf167918, v27
	s_delay_alu instid0(VALU_DEP_4) | instskip(SKIP_2) | instid1(VALU_DEP_3)
	v_fmac_f32_e32 v59, 0x3e9e377a, v54
	v_dual_fmac_f32 v105, 0xbf167918, v33 :: v_dual_add_f32 v26, v26, v88
	v_add_f32_e32 v25, v50, v90
	v_dual_fmac_f32 v53, 0x3f167918, v100 :: v_dual_mul_f32 v32, 0x3f167918, v59
	v_fmac_f32_e32 v40, 0x3e9e377a, v49
	v_add_f32_e32 v20, v24, v22
	v_fmac_f32_e32 v57, 0x3e9e377a, v34
	v_dual_fmac_f32 v31, 0x3f167918, v91 :: v_dual_sub_f32 v22, v24, v22
	v_dual_fmac_f32 v105, 0x3e9e377a, v30 :: v_dual_fmac_f32 v58, 0x3e9e377a, v21
	v_dual_fmac_f32 v47, 0x3e9e377a, v21 :: v_dual_mul_f32 v24, 0x3e9e377a, v40
	v_fmac_f32_e32 v53, 0x3e9e377a, v54
	v_dual_add_f32 v21, v26, v25 :: v_dual_fmac_f32 v32, 0x3f4f1bbd, v27
	v_fmac_f32_e32 v81, 0xbf167918, v23
	v_sub_f32_e32 v23, v26, v25
	v_mul_f32_e32 v26, 0x3e9e377a, v41
	v_fma_f32 v41, 0x3f737871, v41, -v24
	v_add_f32_e32 v24, v55, v32
	v_sub_f32_e32 v32, v55, v32
	v_fmac_f32_e32 v48, 0x3f4f1bbd, v59
	v_mul_f32_e32 v28, 0x3f4f1bbd, v53
	v_fmac_f32_e32 v81, 0x3e9e377a, v52
	v_fma_f32 v51, 0xbf737871, v40, -v26
	v_sub_f32_e32 v40, v35, v41
	global_inv scope:SCOPE_SE
	v_fma_f32 v52, 0xbf167918, v45, -v28
	v_add_f32_e32 v28, v35, v41
	v_mul_f32_e32 v25, 0x3f4f1bbd, v45
	v_mul_f32_e32 v33, 0x3f737871, v81
	v_add_f32_e32 v29, v47, v51
	v_sub_f32_e32 v41, v47, v51
	s_delay_alu instid0(VALU_DEP_4) | instskip(SKIP_2) | instid1(VALU_DEP_2)
	v_fma_f32 v50, 0x3f167918, v53, -v25
	v_fmac_f32_e32 v31, 0x3e9e377a, v49
	v_add_f32_e32 v25, v57, v48
	v_dual_add_f32 v30, v105, v50 :: v_dual_mul_f32 v49, 0xbf737871, v31
	v_fmac_f32_e32 v33, 0x3e9e377a, v31
	v_add_f32_e32 v31, v46, v52
	v_dual_sub_f32 v45, v105, v50 :: v_dual_sub_f32 v46, v46, v52
	s_delay_alu instid0(VALU_DEP_4) | instskip(NEXT) | instid1(VALU_DEP_4)
	v_fmac_f32_e32 v49, 0x3e9e377a, v81
	v_add_f32_e32 v26, v56, v33
	v_dual_sub_f32 v34, v56, v33 :: v_dual_sub_f32 v33, v57, v48
	s_delay_alu instid0(VALU_DEP_3)
	v_add_f32_e32 v27, v58, v49
	v_sub_f32_e32 v35, v58, v49
	ds_store_2addr_b64 v85, v[20:21], v[24:25] offset1:4
	ds_store_2addr_b64 v85, v[26:27], v[28:29] offset0:8 offset1:12
	ds_store_2addr_b64 v85, v[30:31], v[22:23] offset0:16 offset1:20
	;; [unrolled: 1-line block ×4, first 2 shown]
	global_wb scope:SCOPE_SE
	s_wait_dscnt 0x0
	s_barrier_signal -1
	s_barrier_wait -1
	global_inv scope:SCOPE_SE
	s_clause 0x4
	global_load_b128 v[32:35], v[36:37], off offset:288
	global_load_b128 v[28:31], v[36:37], off offset:304
	;; [unrolled: 1-line block ×4, first 2 shown]
	global_load_b64 v[81:82], v[36:37], off offset:352
	ds_load_2addr_b64 v[45:48], v84 offset1:40
	ds_load_2addr_b64 v[49:52], v84 offset0:80 offset1:120
	ds_load_2addr_b64 v[53:56], v84 offset0:160 offset1:200
	ds_load_2addr_b64 v[88:91], v44 offset0:112 offset1:152
	ds_load_2addr_b64 v[92:95], v43 offset0:64 offset1:104
	s_wait_loadcnt_dscnt 0x403
	v_mul_f32_e32 v40, v50, v35
	v_mul_f32_e32 v36, v48, v33
	s_wait_loadcnt_dscnt 0x202
	v_mul_f32_e32 v98, v55, v25
	s_wait_dscnt 0x1
	v_dual_mul_f32 v100, v88, v27 :: v_dual_mul_f32 v37, v47, v33
	s_wait_loadcnt 0x1
	v_dual_mul_f32 v102, v90, v21 :: v_dual_mul_f32 v41, v49, v35
	s_wait_dscnt 0x0
	v_mul_f32_e32 v104, v92, v23
	s_wait_loadcnt 0x0
	v_mul_f32_e32 v106, v94, v82
	v_mul_f32_e32 v59, v54, v31
	;; [unrolled: 1-line block ×4, first 2 shown]
	v_fmac_f32_e32 v104, v93, v22
	v_fma_f32 v40, v49, v34, -v40
	v_fmac_f32_e32 v98, v56, v24
	v_fmac_f32_e32 v100, v89, v26
	;; [unrolled: 1-line block ×5, first 2 shown]
	v_mul_f32_e32 v101, v91, v21
	v_fmac_f32_e32 v106, v95, v81
	v_fma_f32 v48, v53, v30, -v59
	v_mul_f32_e32 v103, v93, v23
	v_dual_mul_f32 v96, v53, v31 :: v_dual_mul_f32 v97, v56, v25
	v_fma_f32 v36, v47, v32, -v36
	v_fma_f32 v47, v51, v28, -v57
	v_fmac_f32_e32 v58, v52, v28
	v_sub_f32_e32 v56, v41, v104
	v_fma_f32 v51, v90, v20, -v101
	v_sub_f32_e32 v90, v48, v40
	v_fma_f32 v52, v92, v22, -v103
	v_dual_mul_f32 v99, v89, v27 :: v_dual_fmac_f32 v96, v54, v30
	v_add_f32_e32 v54, v45, v40
	v_fma_f32 v49, v55, v24, -v97
	s_delay_alu instid0(VALU_DEP_4) | instskip(NEXT) | instid1(VALU_DEP_4)
	v_add_f32_e32 v89, v40, v52
	v_fma_f32 v50, v88, v26, -v99
	v_dual_sub_f32 v108, v98, v102 :: v_dual_sub_f32 v59, v40, v48
	v_add_f32_e32 v114, v37, v58
	v_dual_sub_f32 v40, v40, v52 :: v_dual_mul_f32 v105, v95, v82
	v_add_f32_e32 v92, v46, v41
	v_dual_sub_f32 v88, v52, v50 :: v_dual_sub_f32 v91, v50, v52
	v_dual_add_f32 v93, v96, v100 :: v_dual_sub_f32 v118, v106, v102
	s_delay_alu instid0(VALU_DEP_4)
	v_fma_f32 v53, v94, v81, -v105
	v_add_f32_e32 v55, v48, v50
	v_add_f32_e32 v99, v41, v104
	;; [unrolled: 1-line block ×3, first 2 shown]
	v_sub_f32_e32 v116, v49, v51
	v_sub_f32_e32 v110, v53, v51
	v_fma_f32 v121, -0.5, v55, v45
	v_fma_f32 v89, -0.5, v89, v45
	v_add_f32_e32 v45, v54, v48
	v_dual_add_f32 v54, v92, v96 :: v_dual_add_f32 v111, v47, v53
	v_dual_sub_f32 v57, v96, v100 :: v_dual_sub_f32 v112, v49, v47
	v_dual_sub_f32 v94, v48, v50 :: v_dual_sub_f32 v95, v41, v96
	;; [unrolled: 1-line block ×3, first 2 shown]
	v_sub_f32_e32 v41, v96, v41
	v_sub_f32_e32 v117, v58, v98
	v_add_f32_e32 v119, v58, v106
	v_fma_f32 v93, -0.5, v93, v46
	v_sub_f32_e32 v113, v51, v53
	v_sub_f32_e32 v107, v58, v106
	v_dual_sub_f32 v58, v98, v58 :: v_dual_add_f32 v103, v36, v47
	v_add_f32_e32 v48, v90, v91
	v_fma_f32 v99, -0.5, v99, v46
	v_add_f32_e32 v46, v59, v88
	s_delay_alu instid0(VALU_DEP_4)
	v_add_f32_e32 v58, v58, v120
	v_fma_f32 v88, -0.5, v105, v36
	v_dual_add_f32 v45, v45, v50 :: v_dual_add_f32 v50, v54, v100
	v_dual_sub_f32 v101, v100, v104 :: v_dual_fmac_f32 v36, -0.5, v111
	v_dual_sub_f32 v109, v47, v49 :: v_dual_fmamk_f32 v96, v56, 0x3f737871, v121
	v_add_f32_e32 v115, v98, v102
	v_dual_sub_f32 v47, v47, v53 :: v_dual_fmamk_f32 v100, v94, 0x3f737871, v99
	s_delay_alu instid0(VALU_DEP_4) | instskip(SKIP_2) | instid1(VALU_DEP_4)
	v_dual_fmamk_f32 v54, v108, 0xbf737871, v36 :: v_dual_add_f32 v91, v114, v98
	v_fmamk_f32 v98, v40, 0xbf737871, v93
	v_add_f32_e32 v90, v112, v113
	v_fmac_f32_e32 v100, 0xbf167918, v40
	s_delay_alu instid0(VALU_DEP_4) | instskip(SKIP_2) | instid1(VALU_DEP_3)
	v_dual_fmac_f32 v54, 0x3f167918, v107 :: v_dual_add_f32 v49, v103, v49
	v_add_f32_e32 v52, v45, v52
	v_dual_fmac_f32 v36, 0x3f737871, v108 :: v_dual_add_f32 v91, v91, v102
	v_dual_fmac_f32 v98, 0xbf167918, v94 :: v_dual_add_f32 v49, v49, v51
	v_fmamk_f32 v51, v107, 0x3f737871, v88
	v_fmac_f32_e32 v88, 0xbf737871, v107
	v_fma_f32 v92, -0.5, v115, v37
	v_fmac_f32_e32 v37, -0.5, v119
	v_add_f32_e32 v55, v95, v97
	v_dual_add_f32 v41, v41, v101 :: v_dual_add_f32 v50, v50, v104
	v_dual_add_f32 v59, v109, v110 :: v_dual_fmac_f32 v96, 0x3f167918, v57
	s_delay_alu instid0(VALU_DEP_4) | instskip(SKIP_3) | instid1(VALU_DEP_4)
	v_dual_fmamk_f32 v102, v116, 0x3f737871, v37 :: v_dual_add_f32 v95, v117, v118
	v_fmac_f32_e32 v88, 0xbf167918, v108
	v_fmac_f32_e32 v51, 0x3f167918, v108
	;; [unrolled: 1-line block ×7, first 2 shown]
	v_mul_f32_e32 v59, 0xbf737871, v54
	v_fmac_f32_e32 v102, 0x3e9e377a, v58
	v_fmac_f32_e32 v98, 0x3e9e377a, v55
	;; [unrolled: 1-line block ×7, first 2 shown]
	s_delay_alu instid0(VALU_DEP_4) | instskip(NEXT) | instid1(VALU_DEP_2)
	v_fmac_f32_e32 v36, 0x3e9e377a, v90
	v_fmac_f32_e32 v99, 0x3f167918, v40
	s_delay_alu instid0(VALU_DEP_1) | instskip(SKIP_2) | instid1(VALU_DEP_2)
	v_fmac_f32_e32 v99, 0x3e9e377a, v41
	v_mul_f32_e32 v41, 0x3f737871, v102
	v_fmac_f32_e32 v37, 0xbf737871, v116
	v_fmac_f32_e32 v41, 0x3e9e377a, v54
	v_fmamk_f32 v101, v47, 0xbf737871, v92
	v_fmac_f32_e32 v92, 0x3f737871, v47
	s_delay_alu instid0(VALU_DEP_4) | instskip(NEXT) | instid1(VALU_DEP_3)
	v_fmac_f32_e32 v37, 0x3f167918, v47
	v_fmac_f32_e32 v101, 0xbf167918, v116
	s_delay_alu instid0(VALU_DEP_3) | instskip(SKIP_2) | instid1(VALU_DEP_4)
	v_fmac_f32_e32 v92, 0x3f167918, v116
	v_dual_fmac_f32 v121, 0xbf737871, v56 :: v_dual_add_f32 v40, v49, v53
	v_add_f32_e32 v49, v91, v106
	v_fmac_f32_e32 v101, 0x3e9e377a, v95
	s_delay_alu instid0(VALU_DEP_4)
	v_fmac_f32_e32 v92, 0x3e9e377a, v95
	v_fmamk_f32 v97, v57, 0xbf737871, v89
	v_fmac_f32_e32 v121, 0xbf167918, v57
	v_fmac_f32_e32 v37, 0x3e9e377a, v58
	v_dual_mul_f32 v58, 0xbf167918, v51 :: v_dual_add_f32 v45, v52, v40
	v_sub_f32_e32 v47, v52, v40
	s_delay_alu instid0(VALU_DEP_3) | instskip(SKIP_3) | instid1(VALU_DEP_4)
	v_dual_fmac_f32 v121, 0x3e9e377a, v46 :: v_dual_mul_f32 v52, 0x3e9e377a, v37
	v_dual_add_f32 v46, v50, v49 :: v_dual_fmac_f32 v97, 0x3f167918, v56
	v_mul_f32_e32 v40, 0x3f167918, v101
	v_mul_f32_e32 v53, 0x3f4f1bbd, v92
	v_fma_f32 v91, 0xbf737871, v36, -v52
	s_delay_alu instid0(VALU_DEP_4) | instskip(NEXT) | instid1(VALU_DEP_4)
	v_dual_add_f32 v52, v100, v59 :: v_dual_fmac_f32 v97, 0x3e9e377a, v48
	v_fmac_f32_e32 v40, 0x3f4f1bbd, v51
	v_fmac_f32_e32 v58, 0x3f4f1bbd, v101
	s_delay_alu instid0(VALU_DEP_4) | instskip(NEXT) | instid1(VALU_DEP_4)
	v_dual_fmac_f32 v89, 0x3f737871, v57 :: v_dual_add_f32 v54, v99, v91
	v_add_f32_e32 v51, v97, v41
	s_delay_alu instid0(VALU_DEP_4) | instskip(NEXT) | instid1(VALU_DEP_3)
	v_sub_f32_e32 v57, v96, v40
	v_fmac_f32_e32 v89, 0xbf167918, v56
	s_delay_alu instid0(VALU_DEP_1) | instskip(SKIP_2) | instid1(VALU_DEP_2)
	v_dual_fmac_f32 v89, 0x3e9e377a, v48 :: v_dual_sub_f32 v48, v50, v49
	v_mul_f32_e32 v49, 0x3e9e377a, v36
	v_mul_f32_e32 v50, 0x3f4f1bbd, v88
	v_fma_f32 v37, 0x3f737871, v37, -v49
	v_fmac_f32_e32 v93, 0x3f167918, v94
	s_delay_alu instid0(VALU_DEP_3) | instskip(SKIP_1) | instid1(VALU_DEP_4)
	v_fma_f32 v90, 0x3f167918, v92, -v50
	v_fma_f32 v92, 0xbf167918, v88, -v53
	v_dual_add_f32 v49, v96, v40 :: v_dual_sub_f32 v36, v89, v37
	s_delay_alu instid0(VALU_DEP_4) | instskip(SKIP_3) | instid1(VALU_DEP_4)
	v_dual_fmac_f32 v93, 0x3e9e377a, v55 :: v_dual_add_f32 v50, v98, v58
	v_add_f32_e32 v53, v89, v37
	v_add_f32_e32 v55, v121, v90
	v_sub_f32_e32 v88, v97, v41
	v_add_f32_e32 v56, v93, v92
	v_dual_sub_f32 v58, v98, v58 :: v_dual_sub_f32 v89, v100, v59
	v_dual_sub_f32 v40, v121, v90 :: v_dual_sub_f32 v37, v99, v91
	v_sub_f32_e32 v41, v93, v92
	ds_store_2addr_b64 v84, v[45:46], v[49:50] offset1:40
	ds_store_2addr_b64 v84, v[51:52], v[53:54] offset0:80 offset1:120
	ds_store_2addr_b64 v84, v[55:56], v[47:48] offset0:160 offset1:200
	;; [unrolled: 1-line block ×4, first 2 shown]
	global_wb scope:SCOPE_SE
	s_wait_dscnt 0x0
	s_barrier_signal -1
	s_barrier_wait -1
	global_inv scope:SCOPE_SE
	s_clause 0x7
	global_load_b64 v[88:89], v[61:62], off offset:3200
	global_load_b64 v[90:91], v38, s[0:1] offset:320
	global_load_b64 v[92:93], v38, s[0:1] offset:800
	;; [unrolled: 1-line block ×7, first 2 shown]
	ds_load_2addr_b64 v[44:47], v84 offset1:40
	ds_load_2addr_b64 v[48:51], v84 offset0:100 offset1:140
	ds_load_2addr_b64 v[52:55], v84 offset0:200 offset1:240
	ds_load_2addr_b64 v[56:59], v43 offset0:44 offset1:84
	s_wait_loadcnt_dscnt 0x703
	v_mul_f32_e32 v105, v45, v89
	s_wait_loadcnt 0x6
	v_dual_mul_f32 v104, v44, v89 :: v_dual_mul_f32 v107, v47, v91
	s_wait_loadcnt_dscnt 0x502
	v_dual_mul_f32 v89, v46, v91 :: v_dual_mul_f32 v108, v49, v93
	v_mul_f32_e32 v91, v48, v93
	s_wait_loadcnt_dscnt 0x100
	v_dual_mul_f32 v106, v58, v101 :: v_dual_mul_f32 v109, v51, v95
	v_dual_mul_f32 v93, v50, v95 :: v_dual_mul_f32 v110, v53, v97
	v_mul_f32_e32 v95, v52, v97
	v_mul_f32_e32 v111, v57, v99
	;; [unrolled: 1-line block ×3, first 2 shown]
	s_wait_loadcnt 0x0
	v_mul_f32_e32 v112, v55, v103
	v_mul_f32_e32 v99, v54, v103
	;; [unrolled: 1-line block ×3, first 2 shown]
	v_fma_f32 v103, v44, v88, -v105
	v_fmac_f32_e32 v104, v45, v88
	v_fma_f32 v88, v46, v90, -v107
	v_fmac_f32_e32 v89, v47, v90
	;; [unrolled: 2-line block ×8, first 2 shown]
	ds_store_2addr_b64 v84, v[103:104], v[88:89] offset1:40
	ds_store_2addr_b64 v84, v[90:91], v[92:93] offset0:100 offset1:140
	ds_store_2addr_b64 v84, v[94:95], v[98:99] offset0:200 offset1:240
	;; [unrolled: 1-line block ×3, first 2 shown]
	s_and_saveexec_b32 s2, vcc_lo
	s_cbranch_execz .LBB0_9
; %bb.8:
	s_wait_alu 0xfffe
	v_add_co_u32 v44, s0, s0, v38
	s_wait_alu 0xf1ff
	v_add_co_ci_u32_e64 v45, null, s1, 0, s0
	s_clause 0x3
	global_load_b64 v[52:53], v[44:45], off offset:640
	global_load_b64 v[54:55], v[44:45], off offset:1440
	;; [unrolled: 1-line block ×4, first 2 shown]
	ds_load_2addr_b64 v[44:47], v84 offset0:80 offset1:180
	ds_load_2addr_b64 v[48:51], v43 offset0:24 offset1:124
	s_wait_loadcnt_dscnt 0x301
	v_mul_f32_e32 v38, v45, v53
	s_wait_loadcnt 0x2
	v_dual_mul_f32 v89, v44, v53 :: v_dual_mul_f32 v90, v47, v55
	v_mul_f32_e32 v53, v46, v55
	s_wait_loadcnt_dscnt 0x0
	v_dual_mul_f32 v91, v49, v57 :: v_dual_mul_f32 v92, v51, v59
	v_mul_f32_e32 v55, v48, v57
	v_mul_f32_e32 v57, v50, v59
	v_fma_f32 v88, v44, v52, -v38
	v_fmac_f32_e32 v89, v45, v52
	v_fma_f32 v52, v46, v54, -v90
	v_fmac_f32_e32 v53, v47, v54
	;; [unrolled: 2-line block ×4, first 2 shown]
	ds_store_2addr_b64 v84, v[88:89], v[52:53] offset0:80 offset1:180
	ds_store_2addr_b64 v43, v[54:55], v[56:57] offset0:24 offset1:124
.LBB0_9:
	s_wait_alu 0xfffe
	s_or_b32 exec_lo, exec_lo, s2
	global_wb scope:SCOPE_SE
	s_wait_dscnt 0x0
	s_barrier_signal -1
	s_barrier_wait -1
	global_inv scope:SCOPE_SE
	ds_load_2addr_b64 v[44:47], v84 offset1:40
	ds_load_2addr_b64 v[48:51], v84 offset0:100 offset1:140
	ds_load_2addr_b64 v[56:59], v84 offset0:200 offset1:240
	;; [unrolled: 1-line block ×3, first 2 shown]
	v_add_nc_u32_e32 v88, 0x500, v42
	s_and_saveexec_b32 s0, vcc_lo
	s_cbranch_execz .LBB0_11
; %bb.10:
	v_lshl_add_u32 v16, v83, 3, v39
	v_add_nc_u32_e32 v17, 0x200, v84
	s_delay_alu instid0(VALU_DEP_2)
	v_add_nc_u32_e32 v16, 0x400, v16
	ds_load_2addr_b64 v[36:39], v17 offset0:16 offset1:216
	ds_load_2addr_b64 v[40:43], v16 offset0:52 offset1:252
	s_wait_dscnt 0x0
	v_dual_mov_b32 v16, v38 :: v_dual_mov_b32 v19, v43
	v_dual_mov_b32 v18, v42 :: v_dual_mov_b32 v17, v39
.LBB0_11:
	s_wait_alu 0xfffe
	s_or_b32 exec_lo, exec_lo, s0
	s_wait_dscnt 0x0
	v_dual_sub_f32 v38, v44, v56 :: v_dual_sub_f32 v43, v49, v53
	v_dual_sub_f32 v39, v48, v52 :: v_dual_sub_f32 v56, v45, v57
	v_dual_sub_f32 v58, v46, v58 :: v_dual_sub_f32 v59, v47, v59
	s_delay_alu instid0(VALU_DEP_3) | instskip(NEXT) | instid1(VALU_DEP_3)
	v_fma_f32 v52, v44, 2.0, -v38
	v_fma_f32 v42, v48, 2.0, -v39
	s_delay_alu instid0(VALU_DEP_4) | instskip(SKIP_2) | instid1(VALU_DEP_4)
	v_fma_f32 v45, v45, 2.0, -v56
	v_fma_f32 v48, v49, 2.0, -v43
	v_dual_sub_f32 v57, v50, v54 :: v_dual_sub_f32 v54, v51, v55
	v_sub_f32_e32 v42, v52, v42
	s_delay_alu instid0(VALU_DEP_3) | instskip(NEXT) | instid1(VALU_DEP_3)
	v_dual_add_f32 v44, v38, v43 :: v_dual_sub_f32 v43, v45, v48
	v_sub_f32_e32 v55, v59, v57
	v_fma_f32 v46, v46, 2.0, -v58
	s_delay_alu instid0(VALU_DEP_4)
	v_fma_f32 v48, v52, 2.0, -v42
	v_fma_f32 v47, v47, 2.0, -v59
	;; [unrolled: 1-line block ×5, first 2 shown]
	v_dual_sub_f32 v45, v56, v39 :: v_dual_add_f32 v54, v58, v54
	s_delay_alu instid0(VALU_DEP_3) | instskip(SKIP_1) | instid1(VALU_DEP_3)
	v_dual_sub_f32 v52, v46, v52 :: v_dual_sub_f32 v53, v47, v51
	v_fma_f32 v50, v38, 2.0, -v44
	v_fma_f32 v51, v56, 2.0, -v45
	s_delay_alu instid0(VALU_DEP_4) | instskip(NEXT) | instid1(VALU_DEP_4)
	v_fma_f32 v58, v58, 2.0, -v54
	v_fma_f32 v56, v46, 2.0, -v52
	;; [unrolled: 1-line block ×4, first 2 shown]
	global_wb scope:SCOPE_SE
	s_barrier_signal -1
	s_barrier_wait -1
	global_inv scope:SCOPE_SE
	ds_store_b128 v87, v[48:51]
	ds_store_b128 v87, v[42:45] offset:16
	ds_store_b128 v88, v[56:59]
	ds_store_b128 v88, v[52:55] offset:16
	s_and_saveexec_b32 s0, vcc_lo
	s_cbranch_execz .LBB0_13
; %bb.12:
	v_sub_f32_e32 v38, v37, v17
	v_dual_sub_f32 v17, v41, v19 :: v_dual_sub_f32 v42, v36, v16
	s_delay_alu instid0(VALU_DEP_2) | instskip(NEXT) | instid1(VALU_DEP_2)
	v_fma_f32 v37, v37, 2.0, -v38
	v_fma_f32 v39, v41, 2.0, -v17
	v_sub_f32_e32 v16, v40, v18
	s_delay_alu instid0(VALU_DEP_4) | instskip(SKIP_1) | instid1(VALU_DEP_4)
	v_fma_f32 v36, v36, 2.0, -v42
	v_add_f32_e32 v18, v17, v42
	v_sub_f32_e32 v17, v37, v39
	s_delay_alu instid0(VALU_DEP_4) | instskip(SKIP_1) | instid1(VALU_DEP_3)
	v_fma_f32 v40, v40, 2.0, -v16
	v_sub_f32_e32 v19, v38, v16
	v_fma_f32 v37, v37, 2.0, -v17
	s_delay_alu instid0(VALU_DEP_3) | instskip(NEXT) | instid1(VALU_DEP_3)
	v_sub_f32_e32 v16, v36, v40
	v_fma_f32 v39, v38, 2.0, -v19
	v_fma_f32 v38, v42, 2.0, -v18
	s_delay_alu instid0(VALU_DEP_3)
	v_fma_f32 v36, v36, 2.0, -v16
	ds_store_b128 v86, v[36:39]
	ds_store_b128 v86, v[16:19] offset:16
.LBB0_13:
	s_wait_alu 0xfffe
	s_or_b32 exec_lo, exec_lo, s0
	global_wb scope:SCOPE_SE
	s_wait_dscnt 0x0
	s_barrier_signal -1
	s_barrier_wait -1
	global_inv scope:SCOPE_SE
	ds_load_2addr_b64 v[36:39], v84 offset1:40
	ds_load_2addr_b64 v[40:43], v84 offset0:80 offset1:120
	ds_load_2addr_b64 v[44:47], v84 offset0:160 offset1:200
	v_add_nc_u32_e32 v17, 0x400, v84
	v_add_nc_u32_e32 v16, 0x800, v84
	s_mov_b32 s2, 0x47ae147b
	s_mov_b32 s3, 0x3f647ae1
	s_wait_dscnt 0x2
	v_mul_f32_e32 v18, v13, v39
	v_mul_f32_e32 v13, v13, v38
	ds_load_2addr_b64 v[48:51], v17 offset0:112 offset1:152
	ds_load_2addr_b64 v[52:55], v16 offset0:64 offset1:104
	s_wait_dscnt 0x3
	v_dual_mul_f32 v19, v15, v41 :: v_dual_mul_f32 v56, v9, v43
	v_mul_f32_e32 v9, v9, v42
	s_wait_dscnt 0x2
	v_dual_mul_f32 v57, v11, v45 :: v_dual_fmac_f32 v18, v12, v38
	s_delay_alu instid0(VALU_DEP_3) | instskip(SKIP_2) | instid1(VALU_DEP_4)
	v_dual_mul_f32 v11, v11, v44 :: v_dual_fmac_f32 v56, v8, v42
	v_dual_mul_f32 v15, v15, v40 :: v_dual_mul_f32 v58, v5, v47
	v_fma_f32 v8, v8, v43, -v9
	v_fmac_f32_e32 v57, v10, v44
	s_delay_alu instid0(VALU_DEP_4) | instskip(NEXT) | instid1(VALU_DEP_4)
	v_fma_f32 v9, v10, v45, -v11
	v_dual_fmac_f32 v19, v14, v40 :: v_dual_fmac_f32 v58, v4, v46
	v_fma_f32 v12, v12, v39, -v13
	v_fma_f32 v13, v14, v41, -v15
	global_wb scope:SCOPE_SE
	s_wait_dscnt 0x0
	s_barrier_signal -1
	v_dual_mul_f32 v10, v7, v49 :: v_dual_mul_f32 v5, v5, v46
	v_dual_mul_f32 v7, v7, v48 :: v_dual_mul_f32 v14, v80, v55
	v_mul_f32_e32 v42, v80, v54
	s_delay_alu instid0(VALU_DEP_3) | instskip(NEXT) | instid1(VALU_DEP_4)
	v_fmac_f32_e32 v10, v6, v48
	v_fma_f32 v4, v4, v47, -v5
	v_mul_f32_e32 v5, v3, v52
	v_mul_f32_e32 v3, v3, v53
	v_fma_f32 v6, v6, v49, -v7
	v_add_f32_e32 v44, v37, v13
	v_add_f32_e32 v7, v57, v10
	v_fma_f32 v5, v2, v53, -v5
	v_fmac_f32_e32 v3, v2, v52
	v_dual_mul_f32 v11, v1, v51 :: v_dual_fmac_f32 v14, v79, v54
	v_add_f32_e32 v15, v36, v19
	v_fma_f32 v38, -0.5, v7, v36
	s_delay_alu instid0(VALU_DEP_4)
	v_sub_f32_e32 v40, v3, v10
	v_dual_add_f32 v41, v19, v3 :: v_dual_sub_f32 v2, v9, v6
	v_add_f32_e32 v45, v9, v6
	s_barrier_wait -1
	global_inv scope:SCOPE_SE
	v_fma_f32 v36, -0.5, v41, v36
	v_mul_f32_e32 v1, v1, v50
	v_sub_f32_e32 v7, v13, v5
	v_sub_f32_e32 v39, v19, v57
	s_delay_alu instid0(VALU_DEP_1)
	v_add_f32_e32 v39, v39, v40
	v_fma_f32 v40, v79, v55, -v42
	v_fmamk_f32 v42, v2, 0x3f737871, v36
	v_fmac_f32_e32 v36, 0xbf737871, v2
	v_fmac_f32_e32 v11, v0, v50
	v_fma_f32 v0, v0, v51, -v1
	s_delay_alu instid0(VALU_DEP_4) | instskip(SKIP_4) | instid1(VALU_DEP_4)
	v_dual_add_f32 v1, v15, v57 :: v_dual_fmac_f32 v42, 0xbf167918, v7
	v_fmamk_f32 v15, v7, 0xbf737871, v38
	v_fmac_f32_e32 v38, 0x3f737871, v7
	v_sub_f32_e32 v43, v10, v3
	v_dual_fmac_f32 v36, 0x3f167918, v7 :: v_dual_add_f32 v7, v13, v5
	v_fmac_f32_e32 v15, 0xbf167918, v2
	s_delay_alu instid0(VALU_DEP_4) | instskip(SKIP_3) | instid1(VALU_DEP_4)
	v_fmac_f32_e32 v38, 0x3f167918, v2
	v_dual_add_f32 v1, v1, v10 :: v_dual_add_f32 v2, v44, v9
	v_sub_f32_e32 v10, v57, v10
	v_sub_f32_e32 v44, v5, v6
	v_fmac_f32_e32 v38, 0x3e9e377a, v39
	s_delay_alu instid0(VALU_DEP_4) | instskip(SKIP_2) | instid1(VALU_DEP_2)
	v_add_f32_e32 v41, v1, v3
	v_sub_f32_e32 v1, v57, v19
	v_dual_sub_f32 v3, v19, v3 :: v_dual_add_f32 v2, v2, v6
	v_dual_sub_f32 v46, v0, v40 :: v_dual_add_f32 v1, v1, v43
	v_fma_f32 v43, -0.5, v45, v37
	s_delay_alu instid0(VALU_DEP_3) | instskip(SKIP_2) | instid1(VALU_DEP_4)
	v_add_f32_e32 v45, v2, v5
	v_dual_sub_f32 v2, v9, v13 :: v_dual_fmac_f32 v15, 0x3e9e377a, v39
	v_sub_f32_e32 v39, v13, v9
	v_fmamk_f32 v19, v3, 0x3f737871, v43
	v_fmac_f32_e32 v43, 0xbf737871, v3
	v_sub_f32_e32 v5, v6, v5
	v_add_f32_e32 v6, v18, v56
	v_fmac_f32_e32 v42, 0x3e9e377a, v1
	v_fmac_f32_e32 v36, 0x3e9e377a, v1
	v_fma_f32 v37, -0.5, v7, v37
	v_add_f32_e32 v1, v39, v44
	v_dual_fmac_f32 v43, 0xbf167918, v10 :: v_dual_add_f32 v2, v2, v5
	v_add_f32_e32 v5, v6, v58
	v_add_f32_e32 v6, v58, v11
	v_sub_f32_e32 v7, v14, v11
	v_fmac_f32_e32 v19, 0x3f167918, v10
	v_fmamk_f32 v39, v10, 0xbf737871, v37
	v_fmac_f32_e32 v37, 0x3f737871, v10
	v_dual_fmac_f32 v43, 0x3e9e377a, v1 :: v_dual_sub_f32 v44, v11, v14
	s_delay_alu instid0(VALU_DEP_4) | instskip(SKIP_3) | instid1(VALU_DEP_3)
	v_fmac_f32_e32 v19, 0x3e9e377a, v1
	v_add_f32_e32 v1, v5, v11
	v_sub_f32_e32 v11, v58, v11
	v_add_f32_e32 v5, v56, v14
	v_dual_sub_f32 v13, v58, v56 :: v_dual_add_f32 v10, v1, v14
	v_fmac_f32_e32 v39, 0x3f167918, v3
	v_fmac_f32_e32 v37, 0xbf167918, v3
	v_fma_f32 v3, -0.5, v6, v18
	v_dual_sub_f32 v1, v4, v0 :: v_dual_fmac_f32 v18, -0.5, v5
	s_delay_alu instid0(VALU_DEP_3) | instskip(NEXT) | instid1(VALU_DEP_2)
	v_dual_sub_f32 v6, v8, v40 :: v_dual_fmac_f32 v37, 0x3e9e377a, v2
	v_fmamk_f32 v9, v1, 0x3f737871, v18
	s_delay_alu instid0(VALU_DEP_2) | instskip(SKIP_1) | instid1(VALU_DEP_3)
	v_dual_fmac_f32 v18, 0xbf737871, v1 :: v_dual_fmamk_f32 v5, v6, 0xbf737871, v3
	v_fmac_f32_e32 v3, 0x3f737871, v6
	v_fmac_f32_e32 v9, 0xbf167918, v6
	s_delay_alu instid0(VALU_DEP_3) | instskip(SKIP_4) | instid1(VALU_DEP_2)
	v_fmac_f32_e32 v18, 0x3f167918, v6
	v_sub_f32_e32 v6, v56, v14
	v_dual_sub_f32 v14, v40, v0 :: v_dual_fmac_f32 v39, 0x3e9e377a, v2
	v_dual_sub_f32 v2, v56, v58 :: v_dual_fmac_f32 v5, 0xbf167918, v1
	v_fmac_f32_e32 v3, 0x3f167918, v1
	v_dual_add_f32 v1, v4, v0 :: v_dual_add_f32 v2, v2, v7
	v_add_f32_e32 v7, v13, v44
	v_add_f32_e32 v13, v12, v8
	s_delay_alu instid0(VALU_DEP_3) | instskip(NEXT) | instid1(VALU_DEP_4)
	v_fma_f32 v1, -0.5, v1, v12
	v_fmac_f32_e32 v5, 0x3e9e377a, v2
	v_dual_fmac_f32 v3, 0x3e9e377a, v2 :: v_dual_add_f32 v2, v8, v40
	v_fmac_f32_e32 v9, 0x3e9e377a, v7
	v_fmac_f32_e32 v18, 0x3e9e377a, v7
	v_fmamk_f32 v7, v6, 0x3f737871, v1
	v_fmac_f32_e32 v1, 0xbf737871, v6
	v_fmac_f32_e32 v12, -0.5, v2
	v_sub_f32_e32 v2, v8, v4
	v_sub_f32_e32 v8, v4, v8
	s_delay_alu instid0(VALU_DEP_3) | instskip(SKIP_1) | instid1(VALU_DEP_3)
	v_fmamk_f32 v44, v11, 0xbf737871, v12
	v_fmac_f32_e32 v12, 0x3f737871, v11
	v_add_f32_e32 v8, v8, v46
	v_add_f32_e32 v2, v2, v14
	s_delay_alu instid0(VALU_DEP_4) | instskip(NEXT) | instid1(VALU_DEP_4)
	v_fmac_f32_e32 v44, 0x3f167918, v6
	v_fmac_f32_e32 v12, 0xbf167918, v6
	s_delay_alu instid0(VALU_DEP_2) | instskip(NEXT) | instid1(VALU_DEP_2)
	v_fmac_f32_e32 v44, 0x3e9e377a, v8
	v_fmac_f32_e32 v12, 0x3e9e377a, v8
	s_delay_alu instid0(VALU_DEP_1) | instskip(NEXT) | instid1(VALU_DEP_1)
	v_mul_f32_e32 v46, 0xbf737871, v12
	v_dual_mul_f32 v49, 0xbe9e377a, v12 :: v_dual_fmac_f32 v46, 0xbe9e377a, v18
	v_fmac_f32_e32 v1, 0xbf167918, v11
	s_delay_alu instid0(VALU_DEP_2) | instskip(NEXT) | instid1(VALU_DEP_3)
	v_fmac_f32_e32 v49, 0x3f737871, v18
	v_sub_f32_e32 v18, v36, v46
	s_delay_alu instid0(VALU_DEP_3) | instskip(NEXT) | instid1(VALU_DEP_1)
	v_fmac_f32_e32 v1, 0x3e9e377a, v2
	v_dual_add_f32 v6, v36, v46 :: v_dual_mul_f32 v47, 0xbf167918, v1
	v_mul_f32_e32 v50, 0xbf4f1bbd, v1
	s_delay_alu instid0(VALU_DEP_2) | instskip(SKIP_1) | instid1(VALU_DEP_2)
	v_dual_add_f32 v4, v13, v4 :: v_dual_fmac_f32 v47, 0xbf4f1bbd, v3
	v_mul_f32_e32 v13, 0xbf737871, v44
	v_add_f32_e32 v0, v4, v0
	v_mul_f32_e32 v44, 0x3e9e377a, v44
	s_delay_alu instid0(VALU_DEP_4) | instskip(SKIP_1) | instid1(VALU_DEP_4)
	v_sub_f32_e32 v36, v38, v47
	v_add_f32_e32 v8, v38, v47
	v_add_f32_e32 v40, v0, v40
	;; [unrolled: 1-line block ×3, first 2 shown]
	v_sub_f32_e32 v10, v41, v10
	v_fmac_f32_e32 v44, 0x3f737871, v9
	v_fmac_f32_e32 v7, 0x3f167918, v11
	;; [unrolled: 1-line block ×3, first 2 shown]
	v_dual_fmac_f32 v50, 0x3f167918, v3 :: v_dual_add_f32 v1, v45, v40
	s_delay_alu instid0(VALU_DEP_2) | instskip(NEXT) | instid1(VALU_DEP_2)
	v_dual_fmac_f32 v7, 0x3e9e377a, v2 :: v_dual_sub_f32 v14, v42, v13
	v_dual_add_f32 v4, v42, v13 :: v_dual_add_f32 v9, v43, v50
	s_delay_alu instid0(VALU_DEP_2) | instskip(SKIP_1) | instid1(VALU_DEP_2)
	v_mul_f32_e32 v11, 0xbf167918, v7
	v_dual_mul_f32 v48, 0x3f4f1bbd, v7 :: v_dual_add_f32 v7, v37, v49
	v_fmac_f32_e32 v11, 0x3f4f1bbd, v5
	s_delay_alu instid0(VALU_DEP_2) | instskip(NEXT) | instid1(VALU_DEP_2)
	v_dual_fmac_f32 v48, 0x3f167918, v5 :: v_dual_add_f32 v5, v39, v44
	v_add_f32_e32 v2, v15, v11
	s_delay_alu instid0(VALU_DEP_2)
	v_add_f32_e32 v3, v19, v48
	v_dual_sub_f32 v12, v15, v11 :: v_dual_sub_f32 v11, v45, v40
	v_sub_f32_e32 v13, v19, v48
	v_sub_f32_e32 v15, v39, v44
	;; [unrolled: 1-line block ×4, first 2 shown]
	ds_store_2addr_b64 v85, v[0:1], v[2:3] offset1:4
	ds_store_2addr_b64 v85, v[4:5], v[6:7] offset0:8 offset1:12
	ds_store_2addr_b64 v85, v[8:9], v[10:11] offset0:16 offset1:20
	;; [unrolled: 1-line block ×4, first 2 shown]
	global_wb scope:SCOPE_SE
	s_wait_dscnt 0x0
	s_barrier_signal -1
	s_barrier_wait -1
	global_inv scope:SCOPE_SE
	ds_load_2addr_b64 v[0:3], v84 offset1:40
	ds_load_2addr_b64 v[4:7], v84 offset0:80 offset1:120
	ds_load_2addr_b64 v[8:11], v84 offset0:160 offset1:200
	;; [unrolled: 1-line block ×4, first 2 shown]
	s_wait_dscnt 0x4
	v_mul_f32_e32 v18, v33, v3
	v_mul_f32_e32 v19, v33, v2
	s_delay_alu instid0(VALU_DEP_2) | instskip(SKIP_2) | instid1(VALU_DEP_3)
	v_fmac_f32_e32 v18, v32, v2
	s_wait_dscnt 0x3
	v_mul_f32_e32 v2, v35, v4
	v_fma_f32 v3, v32, v3, -v19
	v_mul_f32_e32 v19, v29, v6
	s_delay_alu instid0(VALU_DEP_3) | instskip(SKIP_1) | instid1(VALU_DEP_1)
	v_fma_f32 v2, v34, v5, -v2
	v_mul_f32_e32 v33, v35, v5
	v_dual_fmac_f32 v33, v34, v4 :: v_dual_mul_f32 v4, v29, v7
	s_wait_dscnt 0x2
	v_mul_f32_e32 v5, v31, v9
	s_delay_alu instid0(VALU_DEP_2) | instskip(NEXT) | instid1(VALU_DEP_2)
	v_dual_mul_f32 v29, v31, v8 :: v_dual_fmac_f32 v4, v28, v6
	v_fmac_f32_e32 v5, v30, v8
	s_delay_alu instid0(VALU_DEP_2)
	v_fma_f32 v8, v30, v9, -v29
	v_mul_f32_e32 v9, v25, v10
	v_fma_f32 v6, v28, v7, -v19
	v_mul_f32_e32 v7, v25, v11
	s_wait_dscnt 0x1
	v_mul_f32_e32 v19, v27, v13
	v_mul_f32_e32 v25, v21, v15
	v_fma_f32 v9, v24, v11, -v9
	s_wait_dscnt 0x0
	v_dual_mul_f32 v11, v23, v36 :: v_dual_add_f32 v30, v1, v2
	v_fmac_f32_e32 v19, v26, v12
	v_mul_f32_e32 v28, v82, v38
	s_delay_alu instid0(VALU_DEP_3) | instskip(SKIP_2) | instid1(VALU_DEP_3)
	v_fma_f32 v11, v22, v37, -v11
	v_dual_fmac_f32 v7, v24, v10 :: v_dual_mul_f32 v10, v27, v12
	v_mul_f32_e32 v12, v21, v14
	v_sub_f32_e32 v24, v2, v11
	s_delay_alu instid0(VALU_DEP_3) | instskip(SKIP_4) | instid1(VALU_DEP_4)
	v_fma_f32 v10, v26, v13, -v10
	v_dual_fmac_f32 v25, v20, v14 :: v_dual_mul_f32 v14, v23, v37
	v_add_f32_e32 v13, v5, v19
	v_add_f32_e32 v23, v0, v33
	v_fma_f32 v12, v20, v15, -v12
	v_dual_add_f32 v31, v8, v10 :: v_dual_fmac_f32 v14, v22, v36
	s_delay_alu instid0(VALU_DEP_4) | instskip(NEXT) | instid1(VALU_DEP_4)
	v_fma_f32 v13, -0.5, v13, v0
	v_add_f32_e32 v15, v23, v5
	v_dual_sub_f32 v23, v33, v5 :: v_dual_sub_f32 v22, v8, v10
	s_delay_alu instid0(VALU_DEP_4) | instskip(NEXT) | instid1(VALU_DEP_4)
	v_dual_sub_f32 v26, v14, v19 :: v_dual_add_f32 v27, v33, v14
	v_fmamk_f32 v20, v24, 0xbf737871, v13
	v_fmac_f32_e32 v13, 0x3f737871, v24
	v_add_f32_e32 v15, v15, v19
	s_delay_alu instid0(VALU_DEP_4)
	v_add_f32_e32 v23, v23, v26
	v_fma_f32 v26, -0.5, v27, v0
	v_fmac_f32_e32 v20, 0xbf167918, v22
	v_fmac_f32_e32 v13, 0x3f167918, v22
	v_fma_f32 v0, v81, v39, -v28
	v_sub_f32_e32 v29, v19, v14
	v_fmamk_f32 v27, v22, 0x3f737871, v26
	v_fmac_f32_e32 v26, 0xbf737871, v22
	v_add_f32_e32 v22, v30, v8
	v_sub_f32_e32 v30, v11, v10
	s_delay_alu instid0(VALU_DEP_4) | instskip(NEXT) | instid1(VALU_DEP_4)
	v_dual_sub_f32 v28, v5, v33 :: v_dual_fmac_f32 v27, 0xbf167918, v24
	v_fmac_f32_e32 v26, 0x3f167918, v24
	s_delay_alu instid0(VALU_DEP_4) | instskip(SKIP_3) | instid1(VALU_DEP_4)
	v_add_f32_e32 v22, v22, v10
	v_add_f32_e32 v24, v2, v11
	v_sub_f32_e32 v5, v5, v19
	v_dual_sub_f32 v19, v2, v8 :: v_dual_sub_f32 v2, v8, v2
	v_add_f32_e32 v22, v22, v11
	v_mul_f32_e32 v21, v82, v39
	v_fma_f32 v24, -0.5, v24, v1
	v_sub_f32_e32 v8, v10, v11
	v_add_f32_e32 v28, v28, v29
	v_fma_f32 v29, -0.5, v31, v1
	v_add_f32_e32 v1, v19, v30
	s_delay_alu instid0(VALU_DEP_4)
	v_dual_fmamk_f32 v19, v5, 0xbf737871, v24 :: v_dual_add_f32 v2, v2, v8
	v_fmac_f32_e32 v24, 0x3f737871, v5
	v_dual_add_f32 v8, v7, v25 :: v_dual_fmac_f32 v21, v81, v38
	v_add_f32_e32 v15, v15, v14
	v_sub_f32_e32 v14, v33, v14
	v_add_f32_e32 v10, v18, v4
	v_sub_f32_e32 v30, v7, v4
	v_fmac_f32_e32 v26, 0x3e9e377a, v28
	s_delay_alu instid0(VALU_DEP_4) | instskip(SKIP_1) | instid1(VALU_DEP_2)
	v_fmac_f32_e32 v19, 0x3f167918, v14
	v_fmac_f32_e32 v24, 0xbf167918, v14
	;; [unrolled: 1-line block ×3, first 2 shown]
	s_delay_alu instid0(VALU_DEP_2)
	v_fmac_f32_e32 v24, 0x3e9e377a, v2
	v_sub_f32_e32 v2, v4, v7
	v_fmac_f32_e32 v20, 0x3e9e377a, v23
	v_fmac_f32_e32 v13, 0x3e9e377a, v23
	v_fmamk_f32 v23, v14, 0x3f737871, v29
	v_fmac_f32_e32 v29, 0xbf737871, v14
	s_delay_alu instid0(VALU_DEP_2) | instskip(NEXT) | instid1(VALU_DEP_2)
	v_fmac_f32_e32 v23, 0x3f167918, v5
	v_fmac_f32_e32 v29, 0xbf167918, v5
	v_add_f32_e32 v5, v10, v7
	v_dual_sub_f32 v10, v6, v0 :: v_dual_sub_f32 v31, v25, v21
	s_delay_alu instid0(VALU_DEP_4) | instskip(NEXT) | instid1(VALU_DEP_4)
	v_fmac_f32_e32 v23, 0x3e9e377a, v1
	v_fmac_f32_e32 v29, 0x3e9e377a, v1
	s_delay_alu instid0(VALU_DEP_4) | instskip(SKIP_3) | instid1(VALU_DEP_4)
	v_add_f32_e32 v1, v5, v25
	v_fma_f32 v5, -0.5, v8, v18
	v_dual_add_f32 v8, v4, v21 :: v_dual_fmac_f32 v27, 0x3e9e377a, v28
	v_sub_f32_e32 v4, v4, v21
	v_add_f32_e32 v11, v1, v21
	v_sub_f32_e32 v1, v9, v12
	s_delay_alu instid0(VALU_DEP_4) | instskip(SKIP_2) | instid1(VALU_DEP_3)
	v_fmac_f32_e32 v18, -0.5, v8
	v_fmamk_f32 v14, v10, 0xbf737871, v5
	v_dual_sub_f32 v8, v21, v25 :: v_dual_fmac_f32 v5, 0x3f737871, v10
	v_fmamk_f32 v28, v1, 0x3f737871, v18
	s_delay_alu instid0(VALU_DEP_3) | instskip(NEXT) | instid1(VALU_DEP_3)
	v_fmac_f32_e32 v14, 0xbf167918, v1
	v_dual_add_f32 v2, v2, v8 :: v_dual_fmac_f32 v5, 0x3f167918, v1
	v_add_f32_e32 v8, v30, v31
	v_dual_fmac_f32 v18, 0xbf737871, v1 :: v_dual_add_f32 v1, v9, v12
	s_delay_alu instid0(VALU_DEP_3) | instskip(NEXT) | instid1(VALU_DEP_4)
	v_fmac_f32_e32 v14, 0x3e9e377a, v2
	v_dual_fmac_f32 v5, 0x3e9e377a, v2 :: v_dual_add_f32 v2, v6, v0
	v_fmac_f32_e32 v28, 0xbf167918, v10
	s_delay_alu instid0(VALU_DEP_4)
	v_fmac_f32_e32 v18, 0x3f167918, v10
	v_fma_f32 v1, -0.5, v1, v3
	v_add_f32_e32 v10, v3, v6
	v_sub_f32_e32 v7, v7, v25
	v_dual_fmac_f32 v3, -0.5, v2 :: v_dual_sub_f32 v2, v6, v9
	v_sub_f32_e32 v6, v9, v6
	v_sub_f32_e32 v30, v12, v0
	v_fmac_f32_e32 v28, 0x3e9e377a, v8
	s_delay_alu instid0(VALU_DEP_4)
	v_fmamk_f32 v25, v7, 0xbf737871, v3
	v_fmac_f32_e32 v3, 0x3f737871, v7
	v_fmac_f32_e32 v18, 0x3e9e377a, v8
	v_add_f32_e32 v6, v6, v30
	v_fmamk_f32 v8, v4, 0x3f737871, v1
	v_fmac_f32_e32 v25, 0x3f167918, v4
	v_fmac_f32_e32 v3, 0xbf167918, v4
	s_delay_alu instid0(VALU_DEP_3) | instskip(NEXT) | instid1(VALU_DEP_2)
	v_fmac_f32_e32 v8, 0x3f167918, v7
	v_fmac_f32_e32 v3, 0x3e9e377a, v6
	s_delay_alu instid0(VALU_DEP_1) | instskip(NEXT) | instid1(VALU_DEP_1)
	v_dual_mul_f32 v30, 0xbf737871, v3 :: v_dual_sub_f32 v21, v0, v12
	v_fmac_f32_e32 v30, 0xbe9e377a, v18
	s_delay_alu instid0(VALU_DEP_2) | instskip(SKIP_1) | instid1(VALU_DEP_2)
	v_dual_add_f32 v2, v2, v21 :: v_dual_fmac_f32 v1, 0xbf737871, v4
	v_add_f32_e32 v4, v10, v9
	v_fmac_f32_e32 v8, 0x3e9e377a, v2
	s_delay_alu instid0(VALU_DEP_2) | instskip(NEXT) | instid1(VALU_DEP_2)
	v_add_f32_e32 v4, v4, v12
	v_dual_sub_f32 v10, v15, v11 :: v_dual_mul_f32 v33, 0x3f4f1bbd, v8
	v_mul_f32_e32 v12, 0xbf167918, v8
	s_delay_alu instid0(VALU_DEP_2) | instskip(SKIP_1) | instid1(VALU_DEP_3)
	v_fmac_f32_e32 v33, 0x3f167918, v14
	v_mul_f32_e32 v34, 0xbe9e377a, v3
	v_fmac_f32_e32 v12, 0x3f4f1bbd, v14
	v_fmac_f32_e32 v25, 0x3e9e377a, v6
	s_delay_alu instid0(VALU_DEP_4) | instskip(NEXT) | instid1(VALU_DEP_4)
	v_dual_add_f32 v6, v26, v30 :: v_dual_add_f32 v3, v23, v33
	v_fmac_f32_e32 v34, 0x3f737871, v18
	v_dual_sub_f32 v18, v26, v30 :: v_dual_fmac_f32 v1, 0xbf167918, v7
	s_delay_alu instid0(VALU_DEP_1) | instskip(SKIP_2) | instid1(VALU_DEP_3)
	v_dual_fmac_f32 v1, 0x3e9e377a, v2 :: v_dual_add_f32 v2, v20, v12
	v_dual_sub_f32 v12, v20, v12 :: v_dual_mul_f32 v21, 0xbf737871, v25
	v_mul_f32_e32 v25, 0x3e9e377a, v25
	v_mul_f32_e32 v32, 0xbf167918, v1
	;; [unrolled: 1-line block ×3, first 2 shown]
	v_add_f32_e32 v31, v4, v0
	v_fmac_f32_e32 v21, 0x3e9e377a, v28
	v_dual_fmac_f32 v25, 0x3f737871, v28 :: v_dual_add_f32 v0, v15, v11
	s_delay_alu instid0(VALU_DEP_2) | instskip(SKIP_4) | instid1(VALU_DEP_4)
	v_add_f32_e32 v4, v27, v21
	v_fmac_f32_e32 v32, 0xbf4f1bbd, v5
	v_fmac_f32_e32 v35, 0x3f167918, v5
	v_add_f32_e32 v1, v22, v31
	v_add_f32_e32 v5, v19, v25
	v_dual_add_f32 v7, v24, v34 :: v_dual_add_f32 v8, v13, v32
	s_delay_alu instid0(VALU_DEP_4)
	v_add_f32_e32 v9, v29, v35
	v_dual_sub_f32 v11, v22, v31 :: v_dual_sub_f32 v14, v27, v21
	v_dual_sub_f32 v20, v13, v32 :: v_dual_sub_f32 v13, v23, v33
	v_sub_f32_e32 v15, v19, v25
	v_sub_f32_e32 v19, v24, v34
	v_sub_f32_e32 v21, v29, v35
	ds_store_2addr_b64 v84, v[0:1], v[2:3] offset1:40
	ds_store_2addr_b64 v84, v[4:5], v[6:7] offset0:80 offset1:120
	ds_store_2addr_b64 v84, v[8:9], v[10:11] offset0:160 offset1:200
	ds_store_2addr_b64 v17, v[12:13], v[14:15] offset0:112 offset1:152
	ds_store_2addr_b64 v16, v[18:19], v[20:21] offset0:64 offset1:104
	global_wb scope:SCOPE_SE
	s_wait_dscnt 0x0
	s_barrier_signal -1
	s_barrier_wait -1
	global_inv scope:SCOPE_SE
	ds_load_2addr_b64 v[0:3], v84 offset1:40
	ds_load_2addr_b64 v[4:7], v84 offset0:100 offset1:140
	ds_load_2addr_b64 v[8:11], v84 offset0:200 offset1:240
	;; [unrolled: 1-line block ×3, first 2 shown]
	v_mad_co_u64_u32 v[33:34], null, s6, v60, 0
	v_mad_co_u64_u32 v[35:36], null, s4, v83, 0
	s_delay_alu instid0(VALU_DEP_1)
	v_mad_co_u64_u32 v[37:38], null, s7, v60, v[34:35]
	s_wait_dscnt 0x3
	v_mul_f32_e32 v17, v76, v1
	s_wait_dscnt 0x2
	v_mul_f32_e32 v19, v74, v5
	v_mul_f32_e32 v20, v74, v4
	s_wait_dscnt 0x1
	v_mul_f32_e32 v21, v78, v9
	v_mul_f32_e32 v22, v78, v8
	v_fmac_f32_e32 v17, v75, v0
	v_mul_f32_e32 v0, v76, v0
	v_fmac_f32_e32 v19, v73, v4
	v_fma_f32 v20, v73, v5, -v20
	v_mul_f32_e32 v27, v64, v7
	v_cvt_f64_f32_e32 v[17:18], v17
	v_fma_f32 v0, v75, v1, -v0
	v_fmac_f32_e32 v21, v77, v8
	v_fma_f32 v22, v77, v9, -v22
	v_cvt_f64_f32_e32 v[4:5], v19
	v_cvt_f64_f32_e32 v[8:9], v20
	;; [unrolled: 1-line block ×3, first 2 shown]
	s_wait_dscnt 0x0
	v_mul_f32_e32 v23, v66, v13
	v_dual_mul_f32 v24, v66, v12 :: v_dual_mul_f32 v25, v72, v3
	v_mul_f32_e32 v26, v72, v2
	v_fmac_f32_e32 v27, v63, v6
	v_mul_f32_e32 v6, v64, v6
	v_mul_f32_e32 v30, v70, v10
	;; [unrolled: 1-line block ×4, first 2 shown]
	v_dual_mul_f32 v32, v68, v14 :: v_dual_fmac_f32 v23, v65, v12
	v_fma_f32 v12, v65, v13, -v24
	v_fmac_f32_e32 v25, v71, v2
	v_fma_f32 v26, v71, v3, -v26
	v_fma_f32 v6, v63, v7, -v6
	;; [unrolled: 1-line block ×3, first 2 shown]
	v_fmac_f32_e32 v29, v69, v10
	v_fmac_f32_e32 v31, v67, v14
	v_fma_f32 v32, v67, v15, -v32
	v_cvt_f64_f32_e32 v[19:20], v21
	v_cvt_f64_f32_e32 v[21:22], v22
	;; [unrolled: 1-line block ×12, first 2 shown]
	s_wait_alu 0xfffe
	v_mul_f64_e32 v[17:18], s[2:3], v[17:18]
	v_mad_co_u64_u32 v[38:39], null, s5, v83, v[36:37]
	v_mov_b32_e32 v34, v37
	v_mul_f64_e32 v[4:5], s[2:3], v[4:5]
	v_mul_f64_e32 v[8:9], s[2:3], v[8:9]
	;; [unrolled: 1-line block ×3, first 2 shown]
	s_delay_alu instid0(VALU_DEP_4) | instskip(SKIP_1) | instid1(VALU_DEP_1)
	v_lshlrev_b64_e32 v[33:34], 3, v[33:34]
	v_mov_b32_e32 v36, v38
	v_lshlrev_b64_e32 v[35:36], 3, v[35:36]
	s_delay_alu instid0(VALU_DEP_3) | instskip(SKIP_1) | instid1(VALU_DEP_4)
	v_add_co_u32 v33, s0, s8, v33
	s_wait_alu 0xf1ff
	v_add_co_ci_u32_e64 v34, s0, s9, v34, s0
	s_movk_i32 s8, 0xfefc
	s_mov_b32 s9, -1
	v_mul_f64_e32 v[19:20], s[2:3], v[19:20]
	v_mul_f64_e32 v[21:22], s[2:3], v[21:22]
	;; [unrolled: 1-line block ×12, first 2 shown]
	v_cvt_f32_f64_e32 v17, v[17:18]
	v_cvt_f32_f64_e32 v4, v[4:5]
	v_cvt_f32_f64_e32 v5, v[8:9]
	v_cvt_f32_f64_e32 v18, v[0:1]
	v_add_co_u32 v0, s0, v33, v35
	s_wait_alu 0xf1ff
	v_add_co_ci_u32_e64 v1, s0, v34, v36, s0
	s_mul_u64 s[0:1], s[4:5], 0x64
	s_wait_alu 0xfffe
	s_mul_u64 s[4:5], s[4:5], s[8:9]
	s_lshl_b64 s[6:7], s[0:1], 3
	s_wait_alu 0xfffe
	s_lshl_b64 s[4:5], s[4:5], 3
	v_cvt_f32_f64_e32 v8, v[19:20]
	v_cvt_f32_f64_e32 v9, v[21:22]
	;; [unrolled: 1-line block ×8, first 2 shown]
	v_add_co_u32 v14, s0, v0, s6
	v_cvt_f32_f64_e32 v19, v[27:28]
	v_cvt_f32_f64_e32 v6, v[10:11]
	s_wait_alu 0xf1ff
	v_add_co_ci_u32_e64 v15, s0, s7, v1, s0
	v_cvt_f32_f64_e32 v10, v[29:30]
	v_cvt_f32_f64_e32 v11, v[31:32]
	v_add_co_u32 v21, s0, v14, s6
	s_wait_alu 0xf1ff
	v_add_co_ci_u32_e64 v22, s0, s7, v15, s0
	global_store_b64 v[0:1], v[17:18], off
	v_add_co_u32 v23, s0, v21, s6
	s_wait_alu 0xf1ff
	v_add_co_ci_u32_e64 v24, s0, s7, v22, s0
	global_store_b64 v[14:15], v[4:5], off
	s_wait_alu 0xfffe
	v_add_co_u32 v25, s0, v23, s4
	s_wait_alu 0xf1ff
	v_add_co_ci_u32_e64 v26, s0, s5, v24, s0
	s_delay_alu instid0(VALU_DEP_2) | instskip(SKIP_1) | instid1(VALU_DEP_2)
	v_add_co_u32 v17, s0, v25, s6
	s_wait_alu 0xf1ff
	v_add_co_ci_u32_e64 v18, s0, s7, v26, s0
	s_delay_alu instid0(VALU_DEP_2) | instskip(SKIP_1) | instid1(VALU_DEP_2)
	v_add_co_u32 v4, s0, v17, s6
	s_wait_alu 0xf1ff
	v_add_co_ci_u32_e64 v5, s0, s7, v18, s0
	global_store_b64 v[21:22], v[8:9], off
	v_add_co_u32 v0, s0, v4, s6
	s_wait_alu 0xf1ff
	v_add_co_ci_u32_e64 v1, s0, s7, v5, s0
	s_clause 0x1
	global_store_b64 v[23:24], v[2:3], off
	global_store_b64 v[25:26], v[12:13], off
	global_store_b64 v[17:18], v[19:20], off
	global_store_b64 v[4:5], v[6:7], off
	global_store_b64 v[0:1], v[10:11], off
	s_and_b32 exec_lo, exec_lo, vcc_lo
	s_cbranch_execz .LBB0_15
; %bb.14:
	s_clause 0x3
	global_load_b64 v[10:11], v[61:62], off offset:640
	global_load_b64 v[12:13], v[61:62], off offset:1440
	;; [unrolled: 1-line block ×4, first 2 shown]
	ds_load_2addr_b64 v[2:5], v84 offset0:80 offset1:180
	ds_load_2addr_b64 v[6:9], v16 offset0:24 offset1:124
	v_add_co_u32 v0, vcc_lo, v0, s4
	s_wait_alu 0xfffd
	v_add_co_ci_u32_e32 v1, vcc_lo, s5, v1, vcc_lo
	s_wait_loadcnt_dscnt 0x201
	v_dual_mul_f32 v16, v3, v11 :: v_dual_mul_f32 v19, v5, v13
	v_mul_f32_e32 v11, v2, v11
	s_wait_loadcnt_dscnt 0x100
	v_dual_mul_f32 v13, v4, v13 :: v_dual_mul_f32 v20, v7, v15
	v_mul_f32_e32 v15, v6, v15
	s_wait_loadcnt 0x0
	v_mul_f32_e32 v21, v9, v18
	v_mul_f32_e32 v18, v8, v18
	v_dual_fmac_f32 v16, v2, v10 :: v_dual_fmac_f32 v19, v4, v12
	v_fma_f32 v10, v10, v3, -v11
	v_fma_f32 v11, v12, v5, -v13
	v_dual_fmac_f32 v20, v6, v14 :: v_dual_fmac_f32 v21, v8, v17
	v_fma_f32 v12, v14, v7, -v15
	v_fma_f32 v17, v17, v9, -v18
	v_cvt_f64_f32_e32 v[2:3], v16
	v_cvt_f64_f32_e32 v[4:5], v10
	;; [unrolled: 1-line block ×8, first 2 shown]
	v_mul_f64_e32 v[2:3], s[2:3], v[2:3]
	v_mul_f64_e32 v[4:5], s[2:3], v[4:5]
	;; [unrolled: 1-line block ×8, first 2 shown]
	v_cvt_f32_f64_e32 v2, v[2:3]
	v_cvt_f32_f64_e32 v3, v[4:5]
	;; [unrolled: 1-line block ×8, first 2 shown]
	v_add_co_u32 v10, vcc_lo, v0, s6
	s_wait_alu 0xfffd
	v_add_co_ci_u32_e32 v11, vcc_lo, s7, v1, vcc_lo
	s_delay_alu instid0(VALU_DEP_2) | instskip(SKIP_1) | instid1(VALU_DEP_2)
	v_add_co_u32 v12, vcc_lo, v10, s6
	s_wait_alu 0xfffd
	v_add_co_ci_u32_e32 v13, vcc_lo, s7, v11, vcc_lo
	s_delay_alu instid0(VALU_DEP_2) | instskip(SKIP_1) | instid1(VALU_DEP_2)
	v_add_co_u32 v14, vcc_lo, v12, s6
	s_wait_alu 0xfffd
	v_add_co_ci_u32_e32 v15, vcc_lo, s7, v13, vcc_lo
	global_store_b64 v[0:1], v[2:3], off
	global_store_b64 v[10:11], v[4:5], off
	;; [unrolled: 1-line block ×4, first 2 shown]
.LBB0_15:
	s_nop 0
	s_sendmsg sendmsg(MSG_DEALLOC_VGPRS)
	s_endpgm
	.section	.rodata,"a",@progbits
	.p2align	6, 0x0
	.amdhsa_kernel bluestein_single_back_len400_dim1_sp_op_CI_CI
		.amdhsa_group_segment_fixed_size 9600
		.amdhsa_private_segment_fixed_size 0
		.amdhsa_kernarg_size 104
		.amdhsa_user_sgpr_count 2
		.amdhsa_user_sgpr_dispatch_ptr 0
		.amdhsa_user_sgpr_queue_ptr 0
		.amdhsa_user_sgpr_kernarg_segment_ptr 1
		.amdhsa_user_sgpr_dispatch_id 0
		.amdhsa_user_sgpr_private_segment_size 0
		.amdhsa_wavefront_size32 1
		.amdhsa_uses_dynamic_stack 0
		.amdhsa_enable_private_segment 0
		.amdhsa_system_sgpr_workgroup_id_x 1
		.amdhsa_system_sgpr_workgroup_id_y 0
		.amdhsa_system_sgpr_workgroup_id_z 0
		.amdhsa_system_sgpr_workgroup_info 0
		.amdhsa_system_vgpr_workitem_id 0
		.amdhsa_next_free_vgpr 122
		.amdhsa_next_free_sgpr 18
		.amdhsa_reserve_vcc 1
		.amdhsa_float_round_mode_32 0
		.amdhsa_float_round_mode_16_64 0
		.amdhsa_float_denorm_mode_32 3
		.amdhsa_float_denorm_mode_16_64 3
		.amdhsa_fp16_overflow 0
		.amdhsa_workgroup_processor_mode 1
		.amdhsa_memory_ordered 1
		.amdhsa_forward_progress 0
		.amdhsa_round_robin_scheduling 0
		.amdhsa_exception_fp_ieee_invalid_op 0
		.amdhsa_exception_fp_denorm_src 0
		.amdhsa_exception_fp_ieee_div_zero 0
		.amdhsa_exception_fp_ieee_overflow 0
		.amdhsa_exception_fp_ieee_underflow 0
		.amdhsa_exception_fp_ieee_inexact 0
		.amdhsa_exception_int_div_zero 0
	.end_amdhsa_kernel
	.text
.Lfunc_end0:
	.size	bluestein_single_back_len400_dim1_sp_op_CI_CI, .Lfunc_end0-bluestein_single_back_len400_dim1_sp_op_CI_CI
                                        ; -- End function
	.section	.AMDGPU.csdata,"",@progbits
; Kernel info:
; codeLenInByte = 9628
; NumSgprs: 20
; NumVgprs: 122
; ScratchSize: 0
; MemoryBound: 0
; FloatMode: 240
; IeeeMode: 1
; LDSByteSize: 9600 bytes/workgroup (compile time only)
; SGPRBlocks: 2
; VGPRBlocks: 15
; NumSGPRsForWavesPerEU: 20
; NumVGPRsForWavesPerEU: 122
; Occupancy: 10
; WaveLimiterHint : 1
; COMPUTE_PGM_RSRC2:SCRATCH_EN: 0
; COMPUTE_PGM_RSRC2:USER_SGPR: 2
; COMPUTE_PGM_RSRC2:TRAP_HANDLER: 0
; COMPUTE_PGM_RSRC2:TGID_X_EN: 1
; COMPUTE_PGM_RSRC2:TGID_Y_EN: 0
; COMPUTE_PGM_RSRC2:TGID_Z_EN: 0
; COMPUTE_PGM_RSRC2:TIDIG_COMP_CNT: 0
	.text
	.p2alignl 7, 3214868480
	.fill 96, 4, 3214868480
	.type	__hip_cuid_10f9028778957e0,@object ; @__hip_cuid_10f9028778957e0
	.section	.bss,"aw",@nobits
	.globl	__hip_cuid_10f9028778957e0
__hip_cuid_10f9028778957e0:
	.byte	0                               ; 0x0
	.size	__hip_cuid_10f9028778957e0, 1

	.ident	"AMD clang version 19.0.0git (https://github.com/RadeonOpenCompute/llvm-project roc-6.4.0 25133 c7fe45cf4b819c5991fe208aaa96edf142730f1d)"
	.section	".note.GNU-stack","",@progbits
	.addrsig
	.addrsig_sym __hip_cuid_10f9028778957e0
	.amdgpu_metadata
---
amdhsa.kernels:
  - .args:
      - .actual_access:  read_only
        .address_space:  global
        .offset:         0
        .size:           8
        .value_kind:     global_buffer
      - .actual_access:  read_only
        .address_space:  global
        .offset:         8
        .size:           8
        .value_kind:     global_buffer
      - .actual_access:  read_only
        .address_space:  global
        .offset:         16
        .size:           8
        .value_kind:     global_buffer
      - .actual_access:  read_only
        .address_space:  global
        .offset:         24
        .size:           8
        .value_kind:     global_buffer
      - .actual_access:  read_only
        .address_space:  global
        .offset:         32
        .size:           8
        .value_kind:     global_buffer
      - .offset:         40
        .size:           8
        .value_kind:     by_value
      - .address_space:  global
        .offset:         48
        .size:           8
        .value_kind:     global_buffer
      - .address_space:  global
        .offset:         56
        .size:           8
        .value_kind:     global_buffer
      - .address_space:  global
        .offset:         64
        .size:           8
        .value_kind:     global_buffer
      - .address_space:  global
        .offset:         72
        .size:           8
        .value_kind:     global_buffer
      - .offset:         80
        .size:           4
        .value_kind:     by_value
      - .address_space:  global
        .offset:         88
        .size:           8
        .value_kind:     global_buffer
      - .address_space:  global
        .offset:         96
        .size:           8
        .value_kind:     global_buffer
    .group_segment_fixed_size: 9600
    .kernarg_segment_align: 8
    .kernarg_segment_size: 104
    .language:       OpenCL C
    .language_version:
      - 2
      - 0
    .max_flat_workgroup_size: 120
    .name:           bluestein_single_back_len400_dim1_sp_op_CI_CI
    .private_segment_fixed_size: 0
    .sgpr_count:     20
    .sgpr_spill_count: 0
    .symbol:         bluestein_single_back_len400_dim1_sp_op_CI_CI.kd
    .uniform_work_group_size: 1
    .uses_dynamic_stack: false
    .vgpr_count:     122
    .vgpr_spill_count: 0
    .wavefront_size: 32
    .workgroup_processor_mode: 1
amdhsa.target:   amdgcn-amd-amdhsa--gfx1201
amdhsa.version:
  - 1
  - 2
...

	.end_amdgpu_metadata
